;; amdgpu-corpus repo=ROCm/rocFFT kind=compiled arch=gfx950 opt=O3
	.text
	.amdgcn_target "amdgcn-amd-amdhsa--gfx950"
	.amdhsa_code_object_version 6
	.protected	fft_rtc_fwd_len176_factors_11_16_wgs_64_tpt_16_halfLds_half_op_CI_CI_unitstride_sbrr_dirReg ; -- Begin function fft_rtc_fwd_len176_factors_11_16_wgs_64_tpt_16_halfLds_half_op_CI_CI_unitstride_sbrr_dirReg
	.globl	fft_rtc_fwd_len176_factors_11_16_wgs_64_tpt_16_halfLds_half_op_CI_CI_unitstride_sbrr_dirReg
	.p2align	8
	.type	fft_rtc_fwd_len176_factors_11_16_wgs_64_tpt_16_halfLds_half_op_CI_CI_unitstride_sbrr_dirReg,@function
fft_rtc_fwd_len176_factors_11_16_wgs_64_tpt_16_halfLds_half_op_CI_CI_unitstride_sbrr_dirReg: ; @fft_rtc_fwd_len176_factors_11_16_wgs_64_tpt_16_halfLds_half_op_CI_CI_unitstride_sbrr_dirReg
; %bb.0:
	s_load_dwordx4 s[4:7], s[0:1], 0x58
	s_load_dwordx4 s[8:11], s[0:1], 0x0
	;; [unrolled: 1-line block ×3, first 2 shown]
	v_lshrrev_b32_e32 v1, 4, v0
	v_lshl_or_b32 v10, s2, 2, v1
	v_mov_b32_e32 v6, 0
	s_waitcnt lgkmcnt(0)
	v_cmp_lt_u64_e64 s[2:3], s[10:11], 2
	v_mov_b32_e32 v11, v6
	s_and_b64 vcc, exec, s[2:3]
	v_mov_b64_e32 v[2:3], 0
	s_cbranch_vccnz .LBB0_8
; %bb.1:
	s_load_dwordx2 s[2:3], s[0:1], 0x10
	s_add_u32 s16, s14, 8
	s_addc_u32 s17, s15, 0
	s_add_u32 s18, s12, 8
	s_addc_u32 s19, s13, 0
	s_waitcnt lgkmcnt(0)
	s_add_u32 s20, s2, 8
	v_mov_b64_e32 v[2:3], 0
	s_addc_u32 s21, s3, 0
	s_mov_b64 s[22:23], 1
	v_mov_b64_e32 v[4:5], v[2:3]
.LBB0_2:                                ; =>This Inner Loop Header: Depth=1
	s_load_dwordx2 s[24:25], s[20:21], 0x0
                                        ; implicit-def: $vgpr8_vgpr9
	s_waitcnt lgkmcnt(0)
	v_or_b32_e32 v7, s25, v11
	v_cmp_ne_u64_e32 vcc, 0, v[6:7]
	s_and_saveexec_b64 s[2:3], vcc
	s_xor_b64 s[26:27], exec, s[2:3]
	s_cbranch_execz .LBB0_4
; %bb.3:                                ;   in Loop: Header=BB0_2 Depth=1
	v_cvt_f32_u32_e32 v7, s24
	v_cvt_f32_u32_e32 v8, s25
	s_sub_u32 s2, 0, s24
	s_subb_u32 s3, 0, s25
	v_fmac_f32_e32 v7, 0x4f800000, v8
	v_rcp_f32_e32 v7, v7
	s_nop 0
	v_mul_f32_e32 v7, 0x5f7ffffc, v7
	v_mul_f32_e32 v8, 0x2f800000, v7
	v_trunc_f32_e32 v8, v8
	v_fmac_f32_e32 v7, 0xcf800000, v8
	v_cvt_u32_f32_e32 v14, v8
	v_cvt_u32_f32_e32 v7, v7
	v_mul_lo_u32 v8, s2, v14
	v_mul_hi_u32 v12, s2, v7
	v_mul_lo_u32 v9, s3, v7
	v_add_u32_e32 v12, v12, v8
	v_mul_lo_u32 v15, s2, v7
	v_add_u32_e32 v16, v12, v9
	v_mul_hi_u32 v8, v7, v15
	v_mul_hi_u32 v13, v7, v16
	v_mul_lo_u32 v12, v7, v16
	v_mov_b32_e32 v9, v6
	v_lshl_add_u64 v[8:9], v[8:9], 0, v[12:13]
	v_mul_hi_u32 v13, v14, v15
	v_mul_lo_u32 v15, v14, v15
	v_add_co_u32_e32 v8, vcc, v8, v15
	v_mul_hi_u32 v12, v14, v16
	s_nop 0
	v_addc_co_u32_e32 v8, vcc, v9, v13, vcc
	v_mov_b32_e32 v9, v6
	s_nop 0
	v_addc_co_u32_e32 v13, vcc, 0, v12, vcc
	v_mul_lo_u32 v12, v14, v16
	v_lshl_add_u64 v[8:9], v[8:9], 0, v[12:13]
	v_add_co_u32_e32 v7, vcc, v7, v8
	v_mul_lo_u32 v12, s2, v7
	s_nop 0
	v_addc_co_u32_e32 v14, vcc, v14, v9, vcc
	v_mul_lo_u32 v8, s2, v14
	v_mul_hi_u32 v9, s2, v7
	v_add_u32_e32 v8, v9, v8
	v_mul_lo_u32 v9, s3, v7
	v_add_u32_e32 v15, v8, v9
	v_mul_hi_u32 v17, v14, v12
	v_mul_lo_u32 v18, v14, v12
	v_mul_hi_u32 v9, v7, v15
	v_mul_lo_u32 v8, v7, v15
	v_mul_hi_u32 v12, v7, v12
	v_mov_b32_e32 v13, v6
	v_lshl_add_u64 v[8:9], v[12:13], 0, v[8:9]
	v_add_co_u32_e32 v8, vcc, v8, v18
	v_mul_hi_u32 v16, v14, v15
	s_nop 0
	v_addc_co_u32_e32 v8, vcc, v9, v17, vcc
	v_mul_lo_u32 v12, v14, v15
	s_nop 0
	v_addc_co_u32_e32 v13, vcc, 0, v16, vcc
	v_mov_b32_e32 v9, v6
	v_lshl_add_u64 v[8:9], v[8:9], 0, v[12:13]
	v_add_co_u32_e32 v7, vcc, v7, v8
	v_mul_hi_u32 v12, v10, v7
	s_nop 0
	v_addc_co_u32_e32 v14, vcc, v14, v9, vcc
	v_mad_u64_u32 v[8:9], s[2:3], v10, v14, 0
	v_mov_b32_e32 v13, v6
	v_lshl_add_u64 v[8:9], v[12:13], 0, v[8:9]
	v_mad_u64_u32 v[12:13], s[2:3], v11, v14, 0
	v_mad_u64_u32 v[14:15], s[2:3], v11, v7, 0
	v_add_co_u32_e32 v7, vcc, v8, v14
	s_nop 1
	v_addc_co_u32_e32 v8, vcc, v9, v15, vcc
	v_mov_b32_e32 v9, v6
	s_nop 0
	v_addc_co_u32_e32 v13, vcc, 0, v13, vcc
	v_lshl_add_u64 v[8:9], v[8:9], 0, v[12:13]
	v_mul_lo_u32 v7, s25, v8
	v_mul_lo_u32 v14, s24, v9
	v_mad_u64_u32 v[12:13], s[2:3], s24, v8, 0
	v_add3_u32 v7, v13, v14, v7
	v_sub_u32_e32 v13, v11, v7
	v_mov_b32_e32 v14, s25
	v_sub_co_u32_e32 v16, vcc, v10, v12
	s_nop 1
	v_subb_co_u32_e64 v12, s[2:3], v13, v14, vcc
	v_subrev_co_u32_e64 v13, s[2:3], s24, v16
	v_subb_co_u32_e32 v7, vcc, v11, v7, vcc
	s_nop 0
	v_subbrev_co_u32_e64 v12, s[2:3], 0, v12, s[2:3]
	v_cmp_le_u32_e64 s[2:3], s25, v12
	v_cmp_le_u32_e32 vcc, s25, v7
	s_nop 0
	v_cndmask_b32_e64 v14, 0, -1, s[2:3]
	v_cmp_le_u32_e64 s[2:3], s24, v13
	s_nop 1
	v_cndmask_b32_e64 v13, 0, -1, s[2:3]
	v_cmp_eq_u32_e64 s[2:3], s25, v12
	s_nop 1
	v_cndmask_b32_e64 v17, v14, v13, s[2:3]
	v_lshl_add_u64 v[12:13], v[8:9], 0, 2
	v_lshl_add_u64 v[14:15], v[8:9], 0, 1
	v_cmp_ne_u32_e64 s[2:3], 0, v17
	s_nop 1
	v_cndmask_b32_e64 v13, v15, v13, s[2:3]
	v_cndmask_b32_e64 v15, 0, -1, vcc
	v_cmp_le_u32_e32 vcc, s24, v16
	s_nop 1
	v_cndmask_b32_e64 v16, 0, -1, vcc
	v_cmp_eq_u32_e32 vcc, s25, v7
	s_nop 1
	v_cndmask_b32_e32 v7, v15, v16, vcc
	v_cmp_ne_u32_e32 vcc, 0, v7
	v_cndmask_b32_e64 v7, v14, v12, s[2:3]
	s_nop 0
	v_cndmask_b32_e32 v9, v9, v13, vcc
	v_cndmask_b32_e32 v8, v8, v7, vcc
.LBB0_4:                                ;   in Loop: Header=BB0_2 Depth=1
	s_andn2_saveexec_b64 s[2:3], s[26:27]
	s_cbranch_execz .LBB0_6
; %bb.5:                                ;   in Loop: Header=BB0_2 Depth=1
	v_cvt_f32_u32_e32 v7, s24
	s_sub_i32 s26, 0, s24
	v_rcp_iflag_f32_e32 v7, v7
	s_nop 0
	v_mul_f32_e32 v7, 0x4f7ffffe, v7
	v_cvt_u32_f32_e32 v7, v7
	v_mul_lo_u32 v8, s26, v7
	v_mul_hi_u32 v8, v7, v8
	v_add_u32_e32 v7, v7, v8
	v_mul_hi_u32 v7, v10, v7
	v_mul_lo_u32 v8, v7, s24
	v_sub_u32_e32 v8, v10, v8
	v_add_u32_e32 v9, 1, v7
	v_subrev_u32_e32 v12, s24, v8
	v_cmp_le_u32_e32 vcc, s24, v8
	s_nop 1
	v_cndmask_b32_e32 v8, v8, v12, vcc
	v_cndmask_b32_e32 v7, v7, v9, vcc
	v_add_u32_e32 v9, 1, v7
	v_cmp_le_u32_e32 vcc, s24, v8
	s_nop 1
	v_cndmask_b32_e32 v8, v7, v9, vcc
	v_mov_b32_e32 v9, v6
.LBB0_6:                                ;   in Loop: Header=BB0_2 Depth=1
	s_or_b64 exec, exec, s[2:3]
	v_mad_u64_u32 v[12:13], s[2:3], v8, s24, 0
	s_load_dwordx2 s[2:3], s[18:19], 0x0
	v_mul_lo_u32 v7, v9, s24
	v_mul_lo_u32 v14, v8, s25
	s_load_dwordx2 s[24:25], s[16:17], 0x0
	s_add_u32 s22, s22, 1
	v_add3_u32 v7, v13, v14, v7
	v_sub_co_u32_e32 v10, vcc, v10, v12
	s_addc_u32 s23, s23, 0
	s_nop 0
	v_subb_co_u32_e32 v7, vcc, v11, v7, vcc
	s_add_u32 s16, s16, 8
	s_waitcnt lgkmcnt(0)
	v_mul_lo_u32 v11, s2, v7
	v_mul_lo_u32 v12, s3, v10
	v_mad_u64_u32 v[2:3], s[2:3], s2, v10, v[2:3]
	s_addc_u32 s17, s17, 0
	v_add3_u32 v3, v12, v3, v11
	v_mul_lo_u32 v7, s24, v7
	v_mul_lo_u32 v11, s25, v10
	v_mad_u64_u32 v[4:5], s[2:3], s24, v10, v[4:5]
	s_add_u32 s18, s18, 8
	v_add3_u32 v5, v11, v5, v7
	s_addc_u32 s19, s19, 0
	v_mov_b64_e32 v[10:11], s[10:11]
	s_add_u32 s20, s20, 8
	v_cmp_ge_u64_e32 vcc, s[22:23], v[10:11]
	s_addc_u32 s21, s21, 0
	s_cbranch_vccnz .LBB0_9
; %bb.7:                                ;   in Loop: Header=BB0_2 Depth=1
	v_mov_b64_e32 v[10:11], v[8:9]
	s_branch .LBB0_2
.LBB0_8:
	v_mov_b64_e32 v[4:5], v[2:3]
	v_mov_b64_e32 v[8:9], v[10:11]
.LBB0_9:
	s_load_dwordx2 s[0:1], s[0:1], 0x28
	s_lshl_b64 s[10:11], s[10:11], 3
	s_add_u32 s2, s14, s10
	s_addc_u32 s3, s15, s11
	v_and_b32_e32 v6, 15, v0
	s_waitcnt lgkmcnt(0)
	v_cmp_gt_u64_e32 vcc, s[0:1], v[8:9]
	v_cmp_le_u64_e64 s[0:1], s[0:1], v[8:9]
                                        ; implicit-def: $sgpr14
	s_and_saveexec_b64 s[16:17], s[0:1]
	s_xor_b64 s[0:1], exec, s[16:17]
; %bb.10:
	v_and_b32_e32 v6, 15, v0
	s_mov_b32 s14, 0
                                        ; implicit-def: $vgpr2_vgpr3
; %bb.11:
	s_or_saveexec_b64 s[0:1], s[0:1]
	v_mov_b32_e32 v10, s14
                                        ; implicit-def: $vgpr38
                                        ; implicit-def: $vgpr27
                                        ; implicit-def: $vgpr37
                                        ; implicit-def: $vgpr28
                                        ; implicit-def: $vgpr36
                                        ; implicit-def: $vgpr29
                                        ; implicit-def: $vgpr34
                                        ; implicit-def: $vgpr30
                                        ; implicit-def: $vgpr22
                                        ; implicit-def: $vgpr31
                                        ; implicit-def: $vgpr23
                                        ; implicit-def: $vgpr32
                                        ; implicit-def: $vgpr24
                                        ; implicit-def: $vgpr33
                                        ; implicit-def: $vgpr25
                                        ; implicit-def: $vgpr35
                                        ; implicit-def: $vgpr26
                                        ; implicit-def: $vgpr39
                                        ; implicit-def: $vgpr11
                                        ; implicit-def: $vgpr40
	s_xor_b64 exec, exec, s[0:1]
	s_cbranch_execz .LBB0_13
; %bb.12:
	s_add_u32 s10, s12, s10
	s_addc_u32 s11, s13, s11
	s_load_dwordx2 s[10:11], s[10:11], 0x0
	v_lshlrev_b32_e32 v10, 2, v6
	v_mov_b32_e32 v11, 0
	s_waitcnt lgkmcnt(0)
	v_mul_lo_u32 v0, s11, v8
	v_mul_lo_u32 v7, s10, v9
	v_mad_u64_u32 v[12:13], s[10:11], s10, v8, 0
	v_add3_u32 v13, v13, v7, v0
	v_lshl_add_u64 v[12:13], v[12:13], 2, s[4:5]
	v_lshl_add_u64 v[2:3], v[2:3], 2, v[12:13]
	v_lshl_add_u64 v[2:3], v[2:3], 0, v[10:11]
	global_load_dword v27, v[2:3], off offset:64
	global_load_dword v28, v[2:3], off offset:128
	;; [unrolled: 1-line block ×10, first 2 shown]
	global_load_dword v10, v[2:3], off
	s_waitcnt vmcnt(10)
	v_lshrrev_b32_e32 v38, 16, v27
	s_waitcnt vmcnt(9)
	v_lshrrev_b32_e32 v37, 16, v28
	;; [unrolled: 2-line block ×10, first 2 shown]
.LBB0_13:
	s_or_b64 exec, exec, s[0:1]
	s_waitcnt vmcnt(0)
	v_add_f16_e32 v0, v27, v10
	v_add_f16_e32 v0, v28, v0
	;; [unrolled: 1-line block ×8, first 2 shown]
	v_mul_u32_u24_e32 v14, 0xb0, v1
	v_add_f16_e32 v0, v39, v0
	v_sub_f16_e32 v1, v38, v11
	v_add_f16_e32 v7, v40, v0
	v_add_f16_e32 v0, v27, v40
	s_mov_b32 s11, 0xbbad
	v_mul_f16_e32 v3, 0xb482, v1
	v_sub_f16_e32 v16, v37, v26
	v_fma_f16 v12, v0, s11, -v3
	v_add_f16_e32 v15, v28, v39
	s_movk_i32 s12, 0x3abb
	v_mul_f16_e32 v20, 0x3853, v16
	v_sub_f16_e32 v19, v36, v25
	v_add_f16_e32 v12, v12, v10
	v_fma_f16 v13, v15, s12, -v20
	v_add_f16_e32 v18, v29, v35
	s_mov_b32 s13, 0xb93d
	v_mul_f16_e32 v41, 0xba0c, v19
	v_sub_f16_e32 v43, v34, v24
	v_add_f16_e32 v12, v13, v12
	v_fma_f16 v13, v18, s13, -v41
	v_add_f16_e32 v42, v30, v33
	s_movk_i32 s14, 0x36a6
	v_mul_f16_e32 v45, 0x3b47, v43
	v_add_f16_e32 v12, v13, v12
	v_fma_f16 v13, v42, s14, -v45
	s_mov_b32 s0, 0x36a63abb
	v_add_f16_e32 v46, v13, v12
	v_pk_mul_f16 v13, v0, s0 op_sel_hi:[0,1]
	s_mov_b32 s0, 0xbb47b853
	s_mov_b32 s1, 0xb93d36a6
	v_pk_fma_f16 v12, v1, s0, v13 op_sel_hi:[0,1,1] neg_lo:[1,0,0] neg_hi:[1,0,0]
	v_pk_mul_f16 v49, v15, s1 op_sel_hi:[0,1]
	s_mov_b32 s1, 0xba0cbb47
	s_load_dwordx2 s[4:5], s[2:3], 0x0
	v_pk_add_f16 v12, v12, v10 op_sel_hi:[1,0]
	v_pk_fma_f16 v50, v16, s1, v49 op_sel_hi:[0,1,1] neg_lo:[1,0,0] neg_hi:[1,0,0]
	s_mov_b32 s2, 0xbbadb08e
	v_pk_add_f16 v12, v50, v12
	v_pk_mul_f16 v50, v18, s2 op_sel_hi:[0,1]
	s_mov_b32 s2, 0x3482bbeb
	v_pk_fma_f16 v51, v19, s2, v50 op_sel_hi:[0,1,1] neg_lo:[1,0,0] neg_hi:[1,0,0]
	s_mov_b32 s3, 0xb08eb93d
	v_pk_fma_f16 v13, v1, s0, v13 op_sel_hi:[0,1,1]
	v_pk_add_f16 v12, v51, v12
	v_pk_mul_f16 v51, v42, s3 op_sel_hi:[0,1]
	s_mov_b32 s3, 0x3bebba0c
	v_pk_add_f16 v13, v13, v10 op_sel_hi:[1,0]
	v_pk_fma_f16 v49, v16, s1, v49 op_sel_hi:[0,1,1]
	v_add_f16_e32 v47, v31, v32
	v_pk_fma_f16 v52, v43, s3, v51 op_sel_hi:[0,1,1] neg_lo:[1,0,0] neg_hi:[1,0,0]
	s_mov_b32 s10, 0x3abbbbad
	v_pk_add_f16 v13, v49, v13
	v_pk_fma_f16 v49, v19, s2, v50 op_sel_hi:[0,1,1]
	v_sub_f16_e32 v48, v22, v23
	v_pk_add_f16 v12, v52, v12
	v_pk_mul_f16 v52, v47, s10 op_sel_hi:[0,1]
	s_mov_b32 s10, 0x3853b482
	v_pk_add_f16 v13, v49, v13
	v_pk_fma_f16 v49, v43, s3, v51 op_sel_hi:[0,1,1]
	s_mov_b32 s1, 0xba0cbbeb
	v_pk_add_f16 v13, v49, v13
	v_pk_fma_f16 v49, v48, s10, v52 op_sel_hi:[0,1,1]
	s_mov_b32 s0, 0xb93db08e
	v_pk_mul_f16 v1, v1, s1 op_sel_hi:[0,1]
	v_mul_f16_e32 v2, 0xbbad, v0
	v_pk_add_f16 v13, v49, v13
	v_pk_mul_f16 v49, v0, s0 op_sel_hi:[0,1]
	v_pk_fma_f16 v0, v0, s0, v1 op_sel_hi:[0,1,1] neg_lo:[0,0,1] neg_hi:[0,0,1]
	s_mov_b32 s0, 0xb08ebbad
	s_mov_b32 s1, 0x3beb3482
	v_pk_fma_f16 v53, v48, s10, v52 op_sel_hi:[0,1,1] neg_lo:[1,0,0] neg_hi:[1,0,0]
	v_add_f16_e32 v50, v1, v49
	v_pk_mul_f16 v51, v15, s0 op_sel_hi:[0,1]
	v_pk_mul_f16 v52, v16, s1 op_sel_hi:[0,1]
	v_add_f16_e32 v50, v50, v10
	v_add_f16_e32 v16, v52, v51
	s_mov_b32 s1, 0xb8533b47
	v_mul_f16_e32 v17, 0x3abb, v15
	v_pk_add_f16 v0, v0, v10 op_sel_hi:[1,0]
	v_add_f16_e32 v16, v16, v50
	v_pk_fma_f16 v15, v15, s0, v52 op_sel_hi:[0,1,1] neg_lo:[0,0,1] neg_hi:[0,0,1]
	s_mov_b32 s0, 0x3abb36a6
	v_pk_mul_f16 v50, v19, s1 op_sel_hi:[0,1]
	v_mul_f16_e32 v21, 0xb93d, v18
	v_pk_add_f16 v0, v15, v0
	v_pk_mul_f16 v15, v18, s0 op_sel_hi:[0,1]
	v_pk_fma_f16 v18, v18, s0, v50 op_sel_hi:[0,1,1] neg_lo:[0,0,1] neg_hi:[0,0,1]
	s_mov_b32 s0, 0xbbad3abb
	s_mov_b32 s1, 0xb482b853
	;; [unrolled: 1-line block ×3, first 2 shown]
	v_pk_add_f16 v12, v53, v12
	v_add_f16_e32 v19, v50, v15
	v_pk_mul_f16 v53, v42, s0 op_sel_hi:[0,1]
	v_pk_mul_f16 v43, v43, s1 op_sel_hi:[0,1]
	v_bfi_b32 v1, s15, v3, v1
	v_bfi_b32 v2, s15, v2, v49
	v_add_f16_e32 v16, v19, v16
	v_pk_add_f16 v0, v18, v0
	v_add_f16_e32 v18, v43, v53
	v_pk_add_f16 v1, v1, v2
	v_bfi_b32 v2, s15, v20, v52
	v_bfi_b32 v3, s15, v17, v51
	v_add_f16_e32 v16, v18, v16
	v_pk_fma_f16 v18, v42, s0, v43 op_sel_hi:[0,1,1] neg_lo:[0,0,1] neg_hi:[0,0,1]
	s_mov_b32 s0, 0x36a6b93d
	s_mov_b32 s1, 0x3b47ba0c
	v_pk_add_f16 v1, v1, v10 op_sel_hi:[1,0]
	v_pk_add_f16 v2, v2, v3
	v_mul_f16_e32 v44, 0x36a6, v42
	v_pk_mul_f16 v42, v47, s0 op_sel_hi:[0,1]
	v_pk_mul_f16 v54, v48, s1 op_sel_hi:[0,1]
	v_pk_add_f16 v1, v2, v1
	v_bfi_b32 v2, s15, v41, v50
	v_bfi_b32 v3, s15, v21, v15
	v_pk_add_f16 v0, v18, v0
	v_add_f16_e32 v18, v54, v42
	v_pk_add_f16 v2, v2, v3
	v_add_f16_e32 v19, v18, v16
	v_pk_fma_f16 v16, v47, s0, v54 op_sel_hi:[0,1,1] neg_lo:[0,0,1] neg_hi:[0,0,1]
	v_pk_add_f16 v1, v2, v1
	v_bfi_b32 v2, s15, v45, v43
	v_bfi_b32 v3, s15, v44, v53
	v_pk_add_f16 v16, v16, v0
	s_mov_b32 s10, 0xb08e
	v_mul_f16_e32 v0, 0xb08e, v47
	v_mul_f16_e32 v48, 0xbbeb, v48
	v_pk_add_f16 v2, v2, v3
	v_fma_f16 v18, v47, s10, -v48
	v_pk_add_f16 v1, v2, v1
	v_bfi_b32 v2, s15, v48, v54
	v_bfi_b32 v0, s15, v0, v42
	v_add_f16_e32 v18, v18, v46
	v_pk_add_f16 v0, v2, v0
	v_mad_u32_u24 v44, v6, 22, 0
	v_pk_add_f16 v3, v0, v1
	v_lshl_add_u32 v43, v14, 1, v44
	v_alignbit_b32 v2, v18, v16, 16
	v_alignbit_b32 v1, v16, v12, 16
	v_pack_b32_f16 v0, v7, v12
	ds_write_b128 v43, v[0:3]
	ds_write_b16 v43, v19 offset:16
	v_alignbit_b32 v0, v13, v13, 16
	v_cmp_gt_u32_e64 s[0:1], 11, v6
	v_lshlrev_b32_e32 v41, 1, v14
	v_lshlrev_b32_e32 v42, 1, v6
	ds_write_b32 v43, v0 offset:18
	s_waitcnt lgkmcnt(0)
	; wave barrier
	s_waitcnt lgkmcnt(0)
                                        ; implicit-def: $vgpr15
                                        ; implicit-def: $vgpr14
                                        ; implicit-def: $vgpr17
                                        ; implicit-def: $vgpr21
                                        ; implicit-def: $vgpr20
	s_and_saveexec_b64 s[2:3], s[0:1]
	s_cbranch_execz .LBB0_15
; %bb.14:
	v_add3_u32 v0, 0, v41, v42
	v_mul_i32_i24_e32 v1, 0xffffffec, v6
	v_add3_u32 v1, v44, v1, v41
	ds_read_u16 v7, v0
	ds_read_u16 v0, v1 offset:22
	ds_read_u16 v2, v1 offset:44
	;; [unrolled: 1-line block ×15, first 2 shown]
	s_mov_b32 s16, 0x5040100
	s_waitcnt lgkmcnt(0)
	v_perm_b32 v12, v2, v0, s16
	v_perm_b32 v16, v13, v3, s16
	;; [unrolled: 1-line block ×4, first 2 shown]
.LBB0_15:
	s_or_b64 exec, exec, s[2:3]
	v_sub_f16_e32 v2, v27, v40
	v_add_f16_sdwa v0, v38, v10 dst_sel:DWORD dst_unused:UNUSED_PAD src0_sel:DWORD src1_sel:WORD_1
	v_add_f16_e32 v1, v38, v11
	v_mul_f16_e32 v40, 0xb482, v2
	v_sub_f16_e32 v39, v28, v39
	v_add_f16_e32 v0, v37, v0
	v_fma_f16 v27, v1, s11, -v40
	v_add_f16_e32 v37, v37, v26
	v_mul_f16_e32 v45, 0x3853, v39
	v_sub_f16_e32 v29, v29, v35
	v_add_f16_e32 v0, v36, v0
	v_add_f16_sdwa v27, v27, v10 dst_sel:DWORD dst_unused:UNUSED_PAD src0_sel:DWORD src1_sel:WORD_1
	v_fma_f16 v28, v37, s12, -v45
	v_add_f16_e32 v36, v36, v25
	v_mul_f16_e32 v46, 0xba0c, v29
	v_sub_f16_e32 v30, v30, v33
	v_add_f16_e32 v0, v34, v0
	v_add_f16_e32 v27, v28, v27
	v_fma_f16 v28, v36, s13, -v46
	v_add_f16_e32 v34, v34, v24
	v_mul_f16_e32 v47, 0x3b47, v30
	v_add_f16_e32 v27, v28, v27
	v_fma_f16 v28, v34, s14, -v47
	s_mov_b32 s3, 0xbb47bbeb
	v_add_f16_e32 v48, v28, v27
	s_mov_b32 s2, 0x36a6b08e
	v_pk_mul_f16 v27, v2, s3 op_sel_hi:[0,1]
	s_mov_b32 s11, 0xba0c3482
	v_sub_f16_e32 v31, v31, v32
	v_pk_fma_f16 v28, v1, s2, v27 op_sel_hi:[0,1,1] neg_lo:[0,0,1] neg_hi:[0,0,1]
	s_mov_b32 s3, 0xb93dbbad
	v_pk_mul_f16 v32, v39, s11 op_sel_hi:[0,1]
	v_pk_add_f16 v28, v28, v10 op_sel:[0,1]
	v_pk_fma_f16 v50, v37, s3, v32 op_sel_hi:[0,1,1] neg_lo:[0,0,1] neg_hi:[0,0,1]
	s_mov_b32 s12, 0x34823b47
	v_pk_add_f16 v28, v50, v28
	s_mov_b32 s11, 0xbbad36a6
	v_pk_mul_f16 v50, v29, s12 op_sel_hi:[0,1]
	v_pk_fma_f16 v51, v36, s11, v50 op_sel_hi:[0,1,1] neg_lo:[0,0,1] neg_hi:[0,0,1]
	s_mov_b32 s13, 0x3bebb853
	v_pk_fma_f16 v27, v1, s2, v27 op_sel_hi:[0,1,1]
	v_pk_add_f16 v28, v51, v28
	s_mov_b32 s12, 0xb08e3abb
	v_pk_mul_f16 v51, v30, s13 op_sel_hi:[0,1]
	v_pk_add_f16 v27, v27, v10 op_sel:[0,1]
	v_pk_fma_f16 v32, v37, s3, v32 op_sel_hi:[0,1,1]
	v_pk_fma_f16 v52, v34, s12, v51 op_sel_hi:[0,1,1] neg_lo:[0,0,1] neg_hi:[0,0,1]
	s_mov_b32 s14, 0x3853ba0c
	v_pk_add_f16 v27, v32, v27
	v_pk_fma_f16 v32, v36, s11, v50 op_sel_hi:[0,1,1]
	v_add_f16_e32 v49, v22, v23
	v_pk_add_f16 v28, v52, v28
	s_mov_b32 s13, 0x3abbb93d
	v_pk_mul_f16 v52, v31, s14 op_sel_hi:[0,1]
	v_pk_add_f16 v27, v32, v27
	v_pk_fma_f16 v32, v34, s12, v51 op_sel_hi:[0,1,1]
	v_pk_add_f16 v27, v32, v27
	v_pk_fma_f16 v32, v49, s13, v52 op_sel_hi:[0,1,1]
	s_mov_b32 s2, 0xb93d3abb
	s_mov_b32 s3, 0xba0cb853
	v_pk_add_f16 v27, v32, v27
	v_pk_mul_f16 v32, v1, s2 op_sel_hi:[0,1]
	v_pk_mul_f16 v2, v2, s3 op_sel_hi:[0,1]
	s_mov_b32 s3, 0x3bebbb47
	s_mov_b32 s11, 0x5040100
	v_mul_f16_e32 v38, 0xbbad, v1
	v_pk_fma_f16 v1, v1, s2, v2 op_sel_hi:[0,1,1] neg_lo:[0,0,1] neg_hi:[0,0,1]
	s_mov_b32 s2, 0xb08e36a6
	v_pk_mul_f16 v39, v39, s3 op_sel_hi:[0,1]
	s_mov_b32 s3, 0xb853bbeb
	v_perm_b32 v22, v32, v22, s11
	v_pack_b32_f16 v0, v0, v2
	v_mul_f16_e32 v44, 0x3abb, v37
	v_pk_mul_f16 v50, v37, s2 op_sel_hi:[0,1]
	v_pk_fma_f16 v51, v37, s2, v39 op_sel_hi:[0,1,1]
	v_pk_fma_f16 v37, v37, s2, v39 op_sel_hi:[0,1,1] neg_lo:[0,0,1] neg_hi:[0,0,1]
	s_mov_b32 s2, 0x3abbb08e
	v_pk_mul_f16 v29, v29, s3 op_sel_hi:[0,1]
	v_pk_add_f16 v0, v22, v0
	v_bfi_b32 v22, s15, v23, v10
	v_pk_fma_f16 v53, v49, s13, v52 op_sel_hi:[0,1,1] neg_lo:[0,0,1] neg_hi:[0,0,1]
	v_pk_add_f16 v1, v1, v10 op_sel:[0,1]
	v_pk_fma_f16 v52, v36, s2, v29 op_sel_hi:[0,1,1]
	s_mov_b32 s3, 0xb482ba0c
	v_pk_add_f16 v0, v22, v0
	v_perm_b32 v22, v51, v24, s11
	v_mul_f16_e32 v35, 0xb93d, v36
	v_pk_add_f16 v1, v37, v1
	v_pk_mul_f16 v37, v36, s2 op_sel_hi:[0,1]
	v_pk_fma_f16 v36, v36, s2, v29 op_sel_hi:[0,1,1] neg_lo:[0,0,1] neg_hi:[0,0,1]
	s_mov_b32 s2, 0xbbadb93d
	v_pk_mul_f16 v30, v30, s3 op_sel_hi:[0,1]
	v_pk_add_f16 v0, v22, v0
	v_perm_b32 v22, v52, v25, s11
	v_alignbit_b32 v25, v38, v32, 16
	v_alignbit_b32 v2, v40, v2, 16
	v_pk_add_f16 v28, v53, v28
	v_pk_fma_f16 v53, v34, s2, v30 op_sel_hi:[0,1,1]
	v_pk_add_f16 v2, v25, v2
	v_pk_add_f16 v0, v22, v0
	v_perm_b32 v22, v53, v26, s11
	s_mov_b32 s3, 0x3b47b482
	v_pk_add_f16 v2, v2, v10 op_sel:[0,1]
	v_alignbit_b32 v10, v44, v50, 16
	v_alignbit_b32 v25, v45, v39, 16
	v_pk_add_f16 v1, v36, v1
	v_pk_mul_f16 v36, v34, s2 op_sel_hi:[0,1]
	v_pk_add_f16 v0, v22, v0
	v_pk_fma_f16 v22, v34, s2, v30 op_sel_hi:[0,1,1] neg_lo:[0,0,1] neg_hi:[0,0,1]
	s_mov_b32 s2, 0x36a6bbad
	v_pk_mul_f16 v23, v31, s3 op_sel_hi:[0,1]
	v_pk_add_f16 v10, v10, v25
	v_pk_fma_f16 v24, v49, s2, v23 op_sel_hi:[0,1,1]
	v_pk_add_f16 v2, v10, v2
	v_alignbit_b32 v10, v35, v37, 16
	v_alignbit_b32 v25, v46, v29, 16
	v_mul_f16_e32 v33, 0x36a6, v34
	v_perm_b32 v11, v24, v11, s11
	v_pk_add_f16 v10, v10, v25
	v_pk_add_f16 v1, v22, v1
	;; [unrolled: 1-line block ×3, first 2 shown]
	v_pk_fma_f16 v11, v49, s2, v23 op_sel_hi:[0,1,1] neg_lo:[0,0,1] neg_hi:[0,0,1]
	v_pk_add_f16 v2, v10, v2
	v_alignbit_b32 v10, v33, v36, 16
	v_alignbit_b32 v25, v47, v30, 16
	v_pk_mul_f16 v22, v49, s2 op_sel_hi:[0,1]
	v_pk_add_f16 v24, v11, v1
	v_mul_f16_e32 v1, 0xb08e, v49
	v_mul_f16_e32 v11, 0xbbeb, v31
	v_pk_add_f16 v10, v10, v25
	v_alignbit_b32 v1, v1, v22, 16
	v_pk_add_f16 v2, v10, v2
	v_alignbit_b32 v10, v11, v23, 16
	v_pk_add_f16 v1, v1, v10
	v_lshrrev_b32_e32 v23, 16, v0
	v_pk_add_f16 v2, v1, v2
	v_fma_f16 v1, v49, s10, -v11
	v_add_f16_e32 v30, v1, v48
	v_alignbit_b32 v1, v27, v27, 16
	v_alignbit_b32 v11, v24, v28, 16
	;; [unrolled: 1-line block ×3, first 2 shown]
	s_waitcnt lgkmcnt(0)
	; wave barrier
	s_waitcnt lgkmcnt(0)
	ds_write_b96 v43, v[0:2]
	ds_write_b16 v43, v30 offset:12
	ds_write_b64 v43, v[10:11] offset:14
	s_waitcnt lgkmcnt(0)
	; wave barrier
	s_waitcnt lgkmcnt(0)
                                        ; implicit-def: $vgpr22
                                        ; implicit-def: $vgpr1
                                        ; implicit-def: $vgpr25
                                        ; implicit-def: $vgpr29
                                        ; implicit-def: $vgpr26
	s_and_saveexec_b64 s[2:3], s[0:1]
	s_cbranch_execz .LBB0_17
; %bb.16:
	v_add3_u32 v0, 0, v41, v42
	v_add3_u32 v2, 0, v42, v41
	ds_read_u16 v0, v0
	ds_read_u16 v23, v2 offset:22
	ds_read_u16 v10, v2 offset:44
	;; [unrolled: 1-line block ×15, first 2 shown]
	s_waitcnt lgkmcnt(6)
	v_perm_b32 v28, v32, v28, s11
	s_waitcnt lgkmcnt(5)
	v_perm_b32 v24, v24, v33, s11
	v_perm_b32 v2, v31, v27, s11
	;; [unrolled: 1-line block ×3, first 2 shown]
.LBB0_17:
	s_or_b64 exec, exec, s[2:3]
	v_cmp_gt_u32_e64 s[2:3], 11, v6
	s_and_b64 s[2:3], vcc, s[2:3]
	s_and_saveexec_b64 s[10:11], s[2:3]
	s_cbranch_execz .LBB0_19
; %bb.18:
	v_add_u32_e32 v10, -11, v6
	v_cndmask_b32_e64 v10, v10, v6, s[0:1]
	v_mul_i32_i24_e32 v10, 15, v10
	v_mov_b32_e32 v11, 0
	v_lshl_add_u64 v[48:49], v[10:11], 2, s[8:9]
	global_load_dwordx4 v[32:35], v[48:49], off offset:16
	global_load_dwordx4 v[36:39], v[48:49], off
	global_load_dwordx4 v[40:43], v[48:49], off offset:32
	global_load_dwordx3 v[44:46], v[48:49], off offset:48
	v_mul_lo_u32 v10, s5, v8
	v_mul_lo_u32 v31, s4, v9
	v_mad_u64_u32 v[8:9], s[0:1], s4, v8, 0
	v_add3_u32 v9, v9, v31, v10
	v_lshrrev_b32_e32 v52, 16, v3
	v_lshrrev_b32_e32 v49, 16, v27
	;; [unrolled: 1-line block ×6, first 2 shown]
	s_movk_i32 s0, 0x39a8
	s_mov_b32 s1, 0xb9a8
	s_mov_b32 s2, 0xb61f
	;; [unrolled: 1-line block ×3, first 2 shown]
	s_movk_i32 s4, 0x3b64
	s_movk_i32 s5, 0x361f
	s_waitcnt vmcnt(3)
	v_lshrrev_b32_e32 v31, 16, v33
	v_mul_f16_e32 v53, v30, v33
	v_mul_f16_e32 v30, v30, v31
	v_lshrrev_b32_e32 v10, 16, v32
	v_fma_f16 v53, v3, v31, v53
	v_fma_f16 v3, v3, v33, -v30
	v_mul_f16_sdwa v30, v28, v35 dst_sel:DWORD dst_unused:UNUSED_PAD src0_sel:DWORD src1_sel:WORD_1
	v_mul_f16_sdwa v55, v19, v35 dst_sel:DWORD dst_unused:UNUSED_PAD src0_sel:DWORD src1_sel:WORD_1
	v_mul_f16_sdwa v54, v2, v32 dst_sel:DWORD dst_unused:UNUSED_PAD src0_sel:WORD_1 src1_sel:DWORD
	v_fma_f16 v19, v19, v35, -v30
	v_fma_f16 v28, v28, v35, v55
	v_mul_f16_sdwa v35, v2, v10 dst_sel:DWORD dst_unused:UNUSED_PAD src0_sel:WORD_1 src1_sel:DWORD
	v_fma_f16 v32, v18, v32, -v35
	v_fma_f16 v10, v18, v10, v54
	s_waitcnt vmcnt(2)
	v_mul_f16_sdwa v18, v49, v37 dst_sel:DWORD dst_unused:UNUSED_PAD src0_sel:DWORD src1_sel:WORD_1
	v_lshrrev_b32_e32 v31, 16, v34
	s_waitcnt vmcnt(1)
	v_mul_f16_sdwa v54, v24, v41 dst_sel:DWORD dst_unused:UNUSED_PAD src0_sel:DWORD src1_sel:WORD_1
	v_fma_f16 v18, v48, v37, -v18
	v_mul_f16_sdwa v48, v48, v37 dst_sel:DWORD dst_unused:UNUSED_PAD src0_sel:DWORD src1_sel:WORD_1
	v_mul_f16_sdwa v30, v24, v31 dst_sel:DWORD dst_unused:UNUSED_PAD src0_sel:WORD_1 src1_sel:DWORD
	v_fma_f16 v37, v49, v37, v48
	v_fma_f16 v49, v13, v41, -v54
	v_mul_f16_sdwa v13, v13, v41 dst_sel:DWORD dst_unused:UNUSED_PAD src0_sel:DWORD src1_sel:WORD_1
	v_fma_f16 v30, v52, v34, -v30
	v_mul_f16_sdwa v34, v24, v34 dst_sel:DWORD dst_unused:UNUSED_PAD src0_sel:WORD_1 src1_sel:DWORD
	v_fma_f16 v13, v24, v41, v13
	v_mul_f16_sdwa v41, v27, v38 dst_sel:DWORD dst_unused:UNUSED_PAD src0_sel:DWORD src1_sel:WORD_1
	v_fma_f16 v31, v52, v31, v34
	s_waitcnt vmcnt(0)
	v_lshrrev_b32_e32 v52, 16, v45
	v_fma_f16 v41, v16, v38, -v41
	v_mul_f16_sdwa v16, v16, v38 dst_sel:DWORD dst_unused:UNUSED_PAD src0_sel:DWORD src1_sel:WORD_1
	s_waitcnt lgkmcnt(1)
	v_mul_f16_e32 v24, v29, v45
	v_mul_f16_e32 v29, v29, v52
	v_fma_f16 v16, v27, v38, v16
	v_mul_f16_sdwa v38, v23, v36 dst_sel:DWORD dst_unused:UNUSED_PAD src0_sel:DWORD src1_sel:WORD_1
	v_lshrrev_b32_e32 v34, 16, v44
	v_fma_f16 v24, v21, v52, v24
	v_fma_f16 v38, v12, v36, -v38
	v_mul_f16_sdwa v12, v12, v36 dst_sel:DWORD dst_unused:UNUSED_PAD src0_sel:DWORD src1_sel:WORD_1
	v_fma_f16 v21, v21, v45, -v29
	v_mul_f16_e32 v29, v25, v44
	v_lshrrev_b32_e32 v33, 16, v39
	v_mul_f16_e32 v35, v2, v39
	v_lshrrev_b32_e32 v55, 16, v43
	;; [unrolled: 2-line block ×3, first 2 shown]
	s_waitcnt lgkmcnt(0)
	v_mul_f16_e32 v27, v26, v46
	v_fma_f16 v12, v23, v36, v12
	v_mul_f16_sdwa v23, v51, v40 dst_sel:DWORD dst_unused:UNUSED_PAD src0_sel:DWORD src1_sel:WORD_1
	v_fma_f16 v29, v17, v34, v29
	v_mul_f16_e32 v25, v25, v34
	v_mul_f16_sdwa v34, v22, v42 dst_sel:DWORD dst_unused:UNUSED_PAD src0_sel:DWORD src1_sel:WORD_1
	v_fma_f16 v27, v20, v48, v27
	v_mul_f16_e32 v26, v26, v48
	v_fma_f16 v35, v47, v33, v35
	v_fma_f16 v36, v14, v55, v56
	v_fma_f16 v23, v50, v40, -v23
	v_fma_f16 v34, v15, v42, -v34
	v_mul_f16_sdwa v15, v15, v42 dst_sel:DWORD dst_unused:UNUSED_PAD src0_sel:DWORD src1_sel:WORD_1
	v_mul_f16_sdwa v50, v50, v40 dst_sel:DWORD dst_unused:UNUSED_PAD src0_sel:DWORD src1_sel:WORD_1
	v_mul_f16_e32 v2, v2, v33
	v_sub_f16_e32 v19, v7, v19
	v_sub_f16_e32 v33, v35, v36
	;; [unrolled: 1-line block ×6, first 2 shown]
	v_fma_f16 v20, v20, v46, -v26
	v_sub_f16_e32 v34, v41, v34
	v_sub_f16_e32 v27, v31, v27
	v_fma_f16 v17, v17, v44, -v25
	v_fma_f16 v15, v22, v42, v15
	v_fma_f16 v40, v51, v40, v50
	v_sub_f16_e32 v13, v37, v13
	v_fma_f16 v2, v47, v39, -v2
	v_sub_f16_e32 v39, v19, v33
	v_sub_f16_e32 v45, v36, v24
	;; [unrolled: 1-line block ×9, first 2 shown]
	v_fma_f16 v47, v45, s0, v39
	v_add_f16_e32 v48, v13, v21
	v_fma_f16 v44, v25, s0, v26
	v_add_f16_e32 v22, v15, v20
	v_add_f16_e32 v50, v40, v17
	v_fma_f16 v47, v48, s1, v47
	v_fma_f16 v42, v22, s1, v44
	v_mul_f16_e32 v1, v1, v55
	v_fma_f16 v51, v22, s0, v50
	v_fma_f16 v49, v39, 2.0, -v47
	v_fma_f16 v44, v26, 2.0, -v42
	v_fma_f16 v51, v25, s0, v51
	v_fma_f16 v1, v14, v43, -v1
	v_fma_f16 v46, v44, s2, v49
	v_fma_f16 v14, v50, 2.0, -v51
	v_sub_f16_e32 v28, v0, v28
	v_sub_f16_e32 v1, v2, v1
	v_fma_f16 v43, v14, s3, v46
	v_add_f16_e32 v46, v28, v1
	v_fma_f16 v52, v48, s0, v46
	v_fma_f16 v52, v45, s0, v52
	v_fma_f16 v48, v13, 2.0, -v48
	v_fma_f16 v26, v23, 2.0, -v26
	;; [unrolled: 1-line block ×13, first 2 shown]
	v_sub_f16_e32 v1, v7, v1
	v_sub_f16_e32 v13, v2, v13
	;; [unrolled: 1-line block ×4, first 2 shown]
	v_fma_f16 v12, v12, 2.0, -v40
	v_fma_f16 v10, v10, 2.0, -v29
	;; [unrolled: 1-line block ×8, first 2 shown]
	v_fma_f16 v14, v14, s2, v54
	v_fma_f16 v39, v19, 2.0, -v39
	v_sub_f16_e32 v19, v1, v13
	v_sub_f16_e32 v24, v17, v16
	;; [unrolled: 1-line block ×6, first 2 shown]
	v_fma_f16 v14, v44, s4, v14
	v_fma_f16 v44, v36, 2.0, -v45
	v_fma_f16 v27, v24, s0, v19
	v_add_f16_e32 v30, v10, v20
	v_add_f16_e32 v21, v28, v3
	v_fma_f16 v45, v44, s1, v39
	v_fma_f16 v25, v34, 2.0, -v25
	v_fma_f16 v27, v30, s1, v27
	v_fma_f16 v31, v30, s0, v21
	v_fma_f16 v34, v1, 2.0, -v19
	v_fma_f16 v30, v10, 2.0, -v30
	;; [unrolled: 1-line block ×10, first 2 shown]
	v_fma_f16 v45, v48, s1, v45
	v_fma_f16 v55, v25, s1, v26
	v_fma_f16 v50, v40, 2.0, -v50
	v_fma_f16 v48, v48, s1, v46
	v_fma_f16 v31, v24, s0, v31
	v_fma_f16 v24, v17, 2.0, -v24
	v_sub_f16_e32 v3, v1, v3
	v_sub_f16_e32 v10, v7, v10
	;; [unrolled: 1-line block ×4, first 2 shown]
	v_fma_f16 v55, v22, s1, v55
	v_fma_f16 v22, v22, s1, v50
	;; [unrolled: 1-line block ×5, first 2 shown]
	v_sub_f16_e32 v12, v3, v10
	v_add_f16_e32 v16, v2, v15
	v_fma_f16 v22, v25, s0, v22
	v_fma_f16 v25, v55, s5, v45
	;; [unrolled: 1-line block ×5, first 2 shown]
	v_fma_f16 v36, v28, 2.0, -v21
	v_fma_f16 v20, v3, 2.0, -v12
	;; [unrolled: 1-line block ×9, first 2 shown]
	v_fma_f16 v25, v22, s3, v25
	v_fma_f16 v42, v42, s5, v51
	;; [unrolled: 1-line block ×3, first 2 shown]
	v_fma_f16 v17, v34, 2.0, -v35
	v_fma_f16 v29, v26, s3, v28
	v_fma_f16 v22, v50, 2.0, -v22
	v_fma_f16 v34, v46, 2.0, -v44
	v_sub_f16_e32 v3, v1, v3
	v_sub_f16_e32 v2, v0, v2
	v_fma_f16 v29, v22, s2, v29
	v_fma_f16 v22, v22, s3, v34
	v_fma_f16 v10, v19, 2.0, -v27
	v_fma_f16 v15, v1, 2.0, -v3
	;; [unrolled: 1-line block ×3, first 2 shown]
	v_lshl_add_u64 v[0:1], v[8:9], 2, s[6:7]
	v_fma_f16 v30, v30, s1, v36
	v_fma_f16 v22, v26, s5, v22
	v_mov_b32_e32 v7, v11
	v_lshl_add_u64 v[0:1], v[4:5], 2, v[0:1]
	v_fma_f16 v24, v24, s0, v30
	v_fma_f16 v28, v28, 2.0, -v29
	v_fma_f16 v26, v34, 2.0, -v22
	v_lshl_add_u64 v[0:1], v[6:7], 2, v[0:1]
	v_pack_b32_f16 v4, v15, v19
	v_pack_b32_f16 v2, v3, v2
	v_fma_f16 v18, v36, 2.0, -v24
	global_store_dword v[0:1], v4, off
	v_pack_b32_f16 v4, v28, v26
	global_store_dword v[0:1], v2, off offset:352
	v_pack_b32_f16 v2, v29, v22
	v_fma_f16 v30, v49, 2.0, -v43
	v_fma_f16 v37, v54, 2.0, -v14
	global_store_dword v[0:1], v4, off offset:44
	v_pack_b32_f16 v4, v17, v18
	global_store_dword v[0:1], v2, off offset:396
	v_pack_b32_f16 v2, v35, v24
	v_fma_f16 v51, v55, s4, v51
	global_store_dword v[0:1], v4, off offset:88
	v_pack_b32_f16 v4, v30, v37
	global_store_dword v[0:1], v2, off offset:440
	v_pack_b32_f16 v2, v43, v14
	v_fma_f16 v32, v45, 2.0, -v25
	v_fma_f16 v33, v44, 2.0, -v51
	global_store_dword v[0:1], v4, off offset:132
	v_pack_b32_f16 v4, v20, v23
	global_store_dword v[0:1], v2, off offset:484
	v_pack_b32_f16 v2, v12, v16
	v_fma_f16 v13, v21, 2.0, -v31
	global_store_dword v[0:1], v4, off offset:176
	v_pack_b32_f16 v4, v32, v33
	global_store_dword v[0:1], v2, off offset:528
	v_pack_b32_f16 v2, v25, v51
	v_fma_f16 v47, v47, 2.0, -v48
	v_fma_f16 v52, v52, 2.0, -v42
	global_store_dword v[0:1], v4, off offset:220
	v_pack_b32_f16 v4, v10, v13
	global_store_dword v[0:1], v2, off offset:572
	v_pack_b32_f16 v2, v27, v31
	;; [unrolled: 2-line block ×4, first 2 shown]
	global_store_dword v[0:1], v4, off offset:308
	global_store_dword v[0:1], v2, off offset:660
.LBB0_19:
	s_endpgm
	.section	.rodata,"a",@progbits
	.p2align	6, 0x0
	.amdhsa_kernel fft_rtc_fwd_len176_factors_11_16_wgs_64_tpt_16_halfLds_half_op_CI_CI_unitstride_sbrr_dirReg
		.amdhsa_group_segment_fixed_size 0
		.amdhsa_private_segment_fixed_size 0
		.amdhsa_kernarg_size 104
		.amdhsa_user_sgpr_count 2
		.amdhsa_user_sgpr_dispatch_ptr 0
		.amdhsa_user_sgpr_queue_ptr 0
		.amdhsa_user_sgpr_kernarg_segment_ptr 1
		.amdhsa_user_sgpr_dispatch_id 0
		.amdhsa_user_sgpr_kernarg_preload_length 0
		.amdhsa_user_sgpr_kernarg_preload_offset 0
		.amdhsa_user_sgpr_private_segment_size 0
		.amdhsa_uses_dynamic_stack 0
		.amdhsa_enable_private_segment 0
		.amdhsa_system_sgpr_workgroup_id_x 1
		.amdhsa_system_sgpr_workgroup_id_y 0
		.amdhsa_system_sgpr_workgroup_id_z 0
		.amdhsa_system_sgpr_workgroup_info 0
		.amdhsa_system_vgpr_workitem_id 0
		.amdhsa_next_free_vgpr 57
		.amdhsa_next_free_sgpr 28
		.amdhsa_accum_offset 60
		.amdhsa_reserve_vcc 1
		.amdhsa_float_round_mode_32 0
		.amdhsa_float_round_mode_16_64 0
		.amdhsa_float_denorm_mode_32 3
		.amdhsa_float_denorm_mode_16_64 3
		.amdhsa_dx10_clamp 1
		.amdhsa_ieee_mode 1
		.amdhsa_fp16_overflow 0
		.amdhsa_tg_split 0
		.amdhsa_exception_fp_ieee_invalid_op 0
		.amdhsa_exception_fp_denorm_src 0
		.amdhsa_exception_fp_ieee_div_zero 0
		.amdhsa_exception_fp_ieee_overflow 0
		.amdhsa_exception_fp_ieee_underflow 0
		.amdhsa_exception_fp_ieee_inexact 0
		.amdhsa_exception_int_div_zero 0
	.end_amdhsa_kernel
	.text
.Lfunc_end0:
	.size	fft_rtc_fwd_len176_factors_11_16_wgs_64_tpt_16_halfLds_half_op_CI_CI_unitstride_sbrr_dirReg, .Lfunc_end0-fft_rtc_fwd_len176_factors_11_16_wgs_64_tpt_16_halfLds_half_op_CI_CI_unitstride_sbrr_dirReg
                                        ; -- End function
	.section	.AMDGPU.csdata,"",@progbits
; Kernel info:
; codeLenInByte = 6028
; NumSgprs: 34
; NumVgprs: 57
; NumAgprs: 0
; TotalNumVgprs: 57
; ScratchSize: 0
; MemoryBound: 0
; FloatMode: 240
; IeeeMode: 1
; LDSByteSize: 0 bytes/workgroup (compile time only)
; SGPRBlocks: 4
; VGPRBlocks: 7
; NumSGPRsForWavesPerEU: 34
; NumVGPRsForWavesPerEU: 57
; AccumOffset: 60
; Occupancy: 8
; WaveLimiterHint : 1
; COMPUTE_PGM_RSRC2:SCRATCH_EN: 0
; COMPUTE_PGM_RSRC2:USER_SGPR: 2
; COMPUTE_PGM_RSRC2:TRAP_HANDLER: 0
; COMPUTE_PGM_RSRC2:TGID_X_EN: 1
; COMPUTE_PGM_RSRC2:TGID_Y_EN: 0
; COMPUTE_PGM_RSRC2:TGID_Z_EN: 0
; COMPUTE_PGM_RSRC2:TIDIG_COMP_CNT: 0
; COMPUTE_PGM_RSRC3_GFX90A:ACCUM_OFFSET: 14
; COMPUTE_PGM_RSRC3_GFX90A:TG_SPLIT: 0
	.text
	.p2alignl 6, 3212836864
	.fill 256, 4, 3212836864
	.type	__hip_cuid_a3f08072ddd2e748,@object ; @__hip_cuid_a3f08072ddd2e748
	.section	.bss,"aw",@nobits
	.globl	__hip_cuid_a3f08072ddd2e748
__hip_cuid_a3f08072ddd2e748:
	.byte	0                               ; 0x0
	.size	__hip_cuid_a3f08072ddd2e748, 1

	.ident	"AMD clang version 19.0.0git (https://github.com/RadeonOpenCompute/llvm-project roc-6.4.0 25133 c7fe45cf4b819c5991fe208aaa96edf142730f1d)"
	.section	".note.GNU-stack","",@progbits
	.addrsig
	.addrsig_sym __hip_cuid_a3f08072ddd2e748
	.amdgpu_metadata
---
amdhsa.kernels:
  - .agpr_count:     0
    .args:
      - .actual_access:  read_only
        .address_space:  global
        .offset:         0
        .size:           8
        .value_kind:     global_buffer
      - .offset:         8
        .size:           8
        .value_kind:     by_value
      - .actual_access:  read_only
        .address_space:  global
        .offset:         16
        .size:           8
        .value_kind:     global_buffer
      - .actual_access:  read_only
        .address_space:  global
        .offset:         24
        .size:           8
        .value_kind:     global_buffer
      - .actual_access:  read_only
        .address_space:  global
        .offset:         32
        .size:           8
        .value_kind:     global_buffer
      - .offset:         40
        .size:           8
        .value_kind:     by_value
      - .actual_access:  read_only
        .address_space:  global
        .offset:         48
        .size:           8
        .value_kind:     global_buffer
      - .actual_access:  read_only
        .address_space:  global
        .offset:         56
        .size:           8
        .value_kind:     global_buffer
      - .offset:         64
        .size:           4
        .value_kind:     by_value
      - .actual_access:  read_only
        .address_space:  global
        .offset:         72
        .size:           8
        .value_kind:     global_buffer
      - .actual_access:  read_only
        .address_space:  global
        .offset:         80
        .size:           8
        .value_kind:     global_buffer
      - .actual_access:  read_only
        .address_space:  global
        .offset:         88
        .size:           8
        .value_kind:     global_buffer
      - .actual_access:  write_only
        .address_space:  global
        .offset:         96
        .size:           8
        .value_kind:     global_buffer
    .group_segment_fixed_size: 0
    .kernarg_segment_align: 8
    .kernarg_segment_size: 104
    .language:       OpenCL C
    .language_version:
      - 2
      - 0
    .max_flat_workgroup_size: 64
    .name:           fft_rtc_fwd_len176_factors_11_16_wgs_64_tpt_16_halfLds_half_op_CI_CI_unitstride_sbrr_dirReg
    .private_segment_fixed_size: 0
    .sgpr_count:     34
    .sgpr_spill_count: 0
    .symbol:         fft_rtc_fwd_len176_factors_11_16_wgs_64_tpt_16_halfLds_half_op_CI_CI_unitstride_sbrr_dirReg.kd
    .uniform_work_group_size: 1
    .uses_dynamic_stack: false
    .vgpr_count:     57
    .vgpr_spill_count: 0
    .wavefront_size: 64
amdhsa.target:   amdgcn-amd-amdhsa--gfx950
amdhsa.version:
  - 1
  - 2
...

	.end_amdgpu_metadata
